;; amdgpu-corpus repo=FlagOpen/FlagGems kind=triton arch=gfx950 opt=O3 lang=triton
	.amdgcn_target "amdgcn-amd-amdhsa--gfx950"
	.amdhsa_code_object_version 5
	.text
	.globl	masked_select_single_pass_kernel ; -- Begin function masked_select_single_pass_kernel
	.p2align	8
	.type	masked_select_single_pass_kernel,@function
masked_select_single_pass_kernel:       ; @masked_select_single_pass_kernel
.Lfunc_begin0:
	.cfi_sections .debug_frame
	.cfi_startproc
; %bb.27:
	.file	1 "/root/src/amdgpu-assembly/repos/FlagOpen__FlagGems/triton_aot_kernels" "masked_select_aot.py"
	.loc	1 8 0 prologue_end              ; masked_select_aot.py:8:0
	s_load_dwordx2 s[2:3], s[0:1], 0x0
	s_load_dwordx8 s[4:11], s[0:1], 0x8
	s_load_dwordx2 s[12:13], s[0:1], 0x28
	s_waitcnt lgkmcnt(0)
	s_branch .LBB0_0
	.loc	1 0 0 is_stmt 0                 ; :0:0
.Ltmp0:
	.p2align	8
; %bb.28:
.LBB0_0:
.Ltmp1:
	.loc	1 18 36 is_stmt 1               ; masked_select_aot.py:18:36
	v_lshrrev_b32_e32 v15, 6, v0
	.loc	1 12 20                         ; masked_select_aot.py:12:20
	s_lshl_b32 s1, s14, 10
	.loc	1 12 46 is_stmt 0               ; masked_select_aot.py:12:46
	v_readfirstlane_b32 s0, v15
	s_lshl_b32 s0, s0, 6
	s_and_b32 s0, s0, 0xc0
	v_and_b32_e32 v4, 63, v0
	.loc	1 12 33                         ; masked_select_aot.py:12:33
	s_or_b32 s0, s0, s1
	v_or_b32_e32 v0, s0, v4
	.loc	1 13 28 is_stmt 1               ; masked_select_aot.py:13:28
	v_ashrrev_i32_e32 v1, 31, v0
	.loc	1 13 52 is_stmt 0               ; masked_select_aot.py:13:52
	v_cmp_gt_i32_e64 s[22:23], s8, v0
	.loc	1 13 28                         ; masked_select_aot.py:13:28
	v_lshl_add_u64 v[2:3], v[0:1], 2, s[2:3]
	v_mov_b32_e32 v22, 0
	v_mov_b32_e32 v24, 0
	.loc	1 13 18                         ; masked_select_aot.py:13:18
	s_and_saveexec_b64 s[0:1], s[22:23]
	s_cbranch_execz .LBB0_2
; %bb.1:
	global_load_dword v24, v[2:3], off
.LBB0_2:
	.loc	1 0 18                          ; masked_select_aot.py:0:18
	s_or_b64 exec, exec, s[0:1]
	.loc	1 12 33 is_stmt 1               ; masked_select_aot.py:12:33
	v_or_b32_e32 v5, 0x100, v0
	.loc	1 13 52                         ; masked_select_aot.py:13:52
	v_cmp_gt_i32_e64 s[2:3], s8, v5
	.loc	1 13 18 is_stmt 0               ; masked_select_aot.py:13:18
	s_and_saveexec_b64 s[0:1], s[2:3]
	s_cbranch_execz .LBB0_4
; %bb.3:
	global_load_dword v22, v[2:3], off offset:1024
.LBB0_4:
	.loc	1 0 18                          ; masked_select_aot.py:0:18
	s_or_b64 exec, exec, s[0:1]
	.loc	1 12 33 is_stmt 1               ; masked_select_aot.py:12:33
	v_or_b32_e32 v5, 0x200, v0
	.loc	1 13 52                         ; masked_select_aot.py:13:52
	v_cmp_gt_i32_e64 s[0:1], s8, v5
	v_mov_b32_e32 v21, 0
	v_mov_b32_e32 v23, 0
	.loc	1 13 18 is_stmt 0               ; masked_select_aot.py:13:18
	s_and_saveexec_b64 s[10:11], s[0:1]
	s_cbranch_execz .LBB0_6
; %bb.5:
	global_load_dword v23, v[2:3], off offset:2048
.LBB0_6:
	.loc	1 0 18                          ; masked_select_aot.py:0:18
	s_or_b64 exec, exec, s[10:11]
	.loc	1 12 33 is_stmt 1               ; masked_select_aot.py:12:33
	v_or_b32_e32 v5, 0x300, v0
	.loc	1 13 52                         ; masked_select_aot.py:13:52
	v_cmp_gt_i32_e32 vcc, s8, v5
	.loc	1 13 18 is_stmt 0               ; masked_select_aot.py:13:18
	s_and_saveexec_b64 s[8:9], vcc
	s_cbranch_execz .LBB0_8
; %bb.7:
	global_load_dword v21, v[2:3], off offset:3072
.LBB0_8:
	.loc	1 0 18                          ; masked_select_aot.py:0:18
	s_or_b64 exec, exec, s[8:9]
	.loc	1 14 19 is_stmt 1               ; masked_select_aot.py:14:19
	v_mov_b32_e32 v3, 0
	.loc	1 14 30 is_stmt 0               ; masked_select_aot.py:14:30
	v_lshl_add_u64 v[0:1], s[4:5], 0, v[0:1]
	v_mov_b32_e32 v6, v3
	.loc	1 14 19                         ; masked_select_aot.py:14:19
	s_and_saveexec_b64 s[4:5], s[22:23]
	s_cbranch_execz .LBB0_10
; %bb.9:
	global_load_ubyte v6, v[0:1], off
.LBB0_10:
	.loc	1 0 19                          ; masked_select_aot.py:0:19
	s_or_b64 exec, exec, s[4:5]
	.loc	1 14 19                         ; masked_select_aot.py:14:19
	s_and_saveexec_b64 s[4:5], s[2:3]
	s_cbranch_execz .LBB0_12
; %bb.11:
	global_load_ubyte v3, v[0:1], off offset:256
.LBB0_12:
	.loc	1 0 19                          ; masked_select_aot.py:0:19
	s_or_b64 exec, exec, s[4:5]
	.loc	1 14 19                         ; masked_select_aot.py:14:19
	v_mov_b32_e32 v2, 0
	v_mov_b32_e32 v5, v2
	s_and_saveexec_b64 s[4:5], s[0:1]
	s_cbranch_execz .LBB0_14
; %bb.13:
	global_load_ubyte v5, v[0:1], off offset:512
.LBB0_14:
	.loc	1 0 19                          ; masked_select_aot.py:0:19
	s_or_b64 exec, exec, s[4:5]
	.loc	1 14 19                         ; masked_select_aot.py:14:19
	s_and_saveexec_b64 s[4:5], vcc
	s_cbranch_execz .LBB0_16
; %bb.15:
	global_load_ubyte v2, v[0:1], off offset:768
.LBB0_16:
	.loc	1 0 19                          ; masked_select_aot.py:0:19
	s_or_b64 exec, exec, s[4:5]
	.loc	1 14 60                         ; masked_select_aot.py:14:60
	v_mov_b32_e32 v12, 0
	s_waitcnt vmcnt(0)
	v_cmp_ne_u16_sdwa s[10:11], v6, v12 src0_sel:BYTE_0 src1_sel:DWORD
.Ltmp2:
	.file	2 "/root/.local/lib/python3.13/site-packages/triton/language" "standard.py"
	.loc	2 343 60 is_stmt 1              ; standard.py:343:60 @[ masked_select_aot.py:16:28 ]
	v_sub_u32_e64 v1, v4, 1 clamp
	v_lshlrev_b32_e32 v1, 2, v1
.Ltmp3:
	.loc	1 15 24                         ; masked_select_aot.py:15:24
	v_cndmask_b32_e64 v0, 0, 1, s[10:11]
.Ltmp4:
	.loc	2 343 60                        ; standard.py:343:60 @[ masked_select_aot.py:16:28 ]
	ds_bpermute_b32 v0, v1, v0
	v_cmp_eq_u32_e64 s[16:17], 0, v4
	v_lshlrev_b32_e32 v7, 2, v4
	v_add_u32_e32 v8, -8, v7
	v_cmp_lt_u32_e64 s[18:19], 1, v4
	s_waitcnt lgkmcnt(0)
	v_cndmask_b32_e64 v0, v0, 0, s[16:17]
	v_addc_co_u32_e64 v6, s[4:5], 0, v0, s[10:11]
	v_cmp_gt_u32_e64 s[4:5], 2, v4
	v_cmp_lt_u32_e64 s[20:21], 3, v4
.Ltmp5:
	.loc	1 14 60                         ; masked_select_aot.py:14:60
	v_cmp_ne_u16_sdwa s[14:15], v3, v12 src0_sel:BYTE_0 src1_sel:DWORD
.Ltmp6:
	.loc	2 343 60                        ; standard.py:343:60 @[ masked_select_aot.py:16:28 ]
	v_cndmask_b32_e64 v8, v8, v7, s[4:5]
	ds_bpermute_b32 v6, v8, v6
.Ltmp7:
	.loc	1 15 24                         ; masked_select_aot.py:15:24
	v_cndmask_b32_e64 v3, 0, 1, s[14:15]
.Ltmp8:
	.loc	2 343 60                        ; standard.py:343:60 @[ masked_select_aot.py:16:28 ]
	ds_bpermute_b32 v3, v1, v3
	v_cmp_gt_u32_e64 s[12:13], 16, v4
	v_cmp_lt_u32_e64 s[24:25], 15, v4
	s_waitcnt lgkmcnt(1)
	v_cndmask_b32_e64 v6, 0, v6, s[18:19]
	v_addc_co_u32_e64 v0, s[4:5], v6, v0, s[10:11]
	v_add_u32_e32 v6, -16, v7
	v_cmp_gt_u32_e64 s[4:5], 4, v4
	s_waitcnt lgkmcnt(0)
	v_cndmask_b32_e64 v3, v3, 0, s[16:17]
.Ltmp9:
	.loc	1 14 60                         ; masked_select_aot.py:14:60
	v_cmp_ne_u16_sdwa s[8:9], v5, v12 src0_sel:BYTE_0 src1_sel:DWORD
.Ltmp10:
	.loc	2 343 60                        ; standard.py:343:60 @[ masked_select_aot.py:16:28 ]
	v_cndmask_b32_e64 v6, v6, v7, s[4:5]
	ds_bpermute_b32 v9, v6, v0
	v_cmp_gt_u32_e64 s[4:5], 8, v4
.Ltmp11:
	.loc	1 15 24                         ; masked_select_aot.py:15:24
	v_cndmask_b32_e64 v5, 0, 1, s[8:9]
.Ltmp12:
	.loc	2 343 60                        ; standard.py:343:60 @[ masked_select_aot.py:16:28 ]
	s_waitcnt lgkmcnt(0)
	v_cndmask_b32_e64 v9, 0, v9, s[20:21]
	v_add_u32_e32 v0, v0, v9
	v_subrev_u32_e32 v9, 32, v7
	v_cndmask_b32_e64 v9, v9, v7, s[4:5]
	ds_bpermute_b32 v10, v9, v0
	v_cmp_lt_u32_e64 s[4:5], 7, v4
	s_waitcnt lgkmcnt(0)
	s_nop 0
	v_cndmask_b32_e64 v10, 0, v10, s[4:5]
	v_add_u32_e32 v0, v0, v10
	v_subrev_u32_e32 v10, 64, v7
	v_cndmask_b32_e64 v10, v10, v7, s[12:13]
	ds_bpermute_b32 v11, v10, v0
	v_addc_co_u32_e64 v13, s[12:13], 0, v3, s[14:15]
	ds_bpermute_b32 v13, v8, v13
.Ltmp13:
	.loc	1 14 60                         ; masked_select_aot.py:14:60
	v_cmp_ne_u16_sdwa s[12:13], v2, v12 src0_sel:BYTE_0 src1_sel:DWORD
.Ltmp14:
	.loc	2 343 60                        ; standard.py:343:60 @[ masked_select_aot.py:16:28 ]
	s_waitcnt lgkmcnt(1)
	v_cndmask_b32_e64 v11, 0, v11, s[24:25]
	v_add_u32_e32 v0, v0, v11
.Ltmp15:
	.loc	1 15 24                         ; masked_select_aot.py:15:24
	v_cndmask_b32_e64 v2, 0, 1, s[12:13]
.Ltmp16:
	.loc	2 343 60                        ; standard.py:343:60 @[ masked_select_aot.py:16:28 ]
	s_waitcnt lgkmcnt(0)
	v_cndmask_b32_e64 v11, 0, v13, s[18:19]
	v_addc_co_u32_e64 v3, s[26:27], v11, v3, s[14:15]
	v_add_u32_e32 v13, 0xffffff80, v7
	v_cmp_gt_u32_e64 s[26:27], 32, v4
	ds_bpermute_b32 v11, v6, v3
	s_waitcnt lgkmcnt(0)
	v_cndmask_b32_e64 v11, 0, v11, s[20:21]
	v_cndmask_b32_e64 v7, v13, v7, s[26:27]
	ds_bpermute_b32 v13, v7, v0
	v_cmp_lt_u32_e64 s[26:27], 31, v4
	v_add_u32_e32 v3, v3, v11
	ds_bpermute_b32 v11, v9, v3
	s_waitcnt lgkmcnt(1)
	v_cndmask_b32_e64 v13, 0, v13, s[26:27]
	v_add_u32_e32 v16, v0, v13
	ds_bpermute_b32 v0, v1, v5
	ds_bpermute_b32 v1, v1, v2
	s_waitcnt lgkmcnt(2)
	v_cndmask_b32_e64 v5, 0, v11, s[4:5]
	v_add_u32_e32 v3, v3, v5
	ds_bpermute_b32 v5, v10, v3
	s_waitcnt lgkmcnt(2)
	v_cndmask_b32_e64 v0, v0, 0, s[16:17]
	v_addc_co_u32_e64 v2, s[28:29], 0, v0, s[8:9]
	s_waitcnt lgkmcnt(1)
	v_cndmask_b32_e64 v1, v1, 0, s[16:17]
	ds_bpermute_b32 v2, v8, v2
	v_addc_co_u32_e64 v11, s[16:17], 0, v1, s[12:13]
	ds_bpermute_b32 v8, v8, v11
	s_waitcnt lgkmcnt(2)
	v_cndmask_b32_e64 v5, 0, v5, s[24:25]
	s_waitcnt lgkmcnt(1)
	v_cndmask_b32_e64 v2, 0, v2, s[18:19]
	v_addc_co_u32_e64 v0, s[16:17], v2, v0, s[8:9]
	s_waitcnt lgkmcnt(0)
	v_cndmask_b32_e64 v8, 0, v8, s[18:19]
	ds_bpermute_b32 v2, v6, v0
	v_addc_co_u32_e64 v1, s[16:17], v8, v1, s[12:13]
	ds_bpermute_b32 v6, v6, v1
	v_add_u32_e32 v3, v3, v5
	s_waitcnt lgkmcnt(1)
	v_cndmask_b32_e64 v2, 0, v2, s[20:21]
	v_add_u32_e32 v0, v0, v2
	ds_bpermute_b32 v2, v9, v0
	s_waitcnt lgkmcnt(1)
	v_cndmask_b32_e64 v6, 0, v6, s[20:21]
	v_add_u32_e32 v1, v1, v6
	ds_bpermute_b32 v6, v9, v1
	;; [unrolled: 4-line block ×4, first 2 shown]
	ds_bpermute_b32 v6, v7, v3
	s_waitcnt lgkmcnt(2)
	v_cndmask_b32_e64 v2, 0, v2, s[24:25]
	v_add_u32_e32 v0, v0, v2
	ds_bpermute_b32 v2, v7, v0
	s_waitcnt lgkmcnt(2)
	v_cndmask_b32_e64 v5, 0, v5, s[24:25]
	v_add_u32_e32 v1, v1, v5
	ds_bpermute_b32 v5, v7, v1
	s_waitcnt lgkmcnt(2)
	v_cndmask_b32_e64 v6, 0, v6, s[26:27]
	s_waitcnt lgkmcnt(1)
	v_cndmask_b32_e64 v2, 0, v2, s[26:27]
	v_add_u32_e32 v18, v0, v2
	v_add_u32_e32 v19, v3, v6
	s_waitcnt lgkmcnt(0)
	v_cndmask_b32_e64 v0, 0, v5, s[26:27]
	v_add_u32_e32 v17, v1, v0
	v_cmp_eq_u32_e64 s[4:5], 63, v4
	s_and_saveexec_b64 s[16:17], s[4:5]
	s_cbranch_execz .LBB0_18
; %bb.17:                               ; %.critedge
	.loc	2 0 60 is_stmt 0                ; standard.py:0:60
	v_lshl_add_u32 v0, v15, 2, 0
	.loc	2 343 60                        ; standard.py:343:60 @[ masked_select_aot.py:16:28 ]
	ds_write2_b32 v0, v16, v19 offset1:4
	ds_write2_b32 v0, v18, v17 offset0:8 offset1:12
.LBB0_18:                               ; %.critedge4
	.loc	2 0 60                          ; standard.py:0:60
	s_or_b64 exec, exec, s[16:17]
	.loc	2 343 60                        ; standard.py:343:60 @[ masked_select_aot.py:16:28 ]
	s_waitcnt lgkmcnt(0)
	s_barrier
	ds_read_b128 v[8:11], v12
	ds_read_b128 v[4:7], v12 offset:16
	ds_read_b128 v[0:3], v12 offset:32
	ds_read_b96 v[12:14], v12 offset:48
	v_cmp_lt_u32_e64 s[16:17], 1, v15
.Ltmp17:
	.loc	2 263 15 is_stmt 1              ; standard.py:263:15 @[ standard.py:343:60 @[ masked_select_aot.py:16:28 ] ]
	s_waitcnt lgkmcnt(3)
	v_add_u32_e32 v20, v9, v8
.Ltmp18:
	.loc	2 343 60                        ; standard.py:343:60 @[ masked_select_aot.py:16:28 ]
	v_cmp_eq_u32_e64 s[18:19], 3, v15
.Ltmp19:
	.loc	2 263 15                        ; standard.py:263:15 @[ standard.py:343:60 @[ masked_select_aot.py:16:28 ] ]
	v_add_u32_e32 v9, v20, v10
.Ltmp20:
	.loc	2 343 60                        ; standard.py:343:60 @[ masked_select_aot.py:16:28 ]
	v_cmp_eq_u32_e64 s[4:5], 0, v15
.Ltmp21:
	.loc	1 18 62                         ; masked_select_aot.py:18:62
	s_and_b64 s[20:21], s[22:23], s[10:11]
	.loc	1 18 36 is_stmt 0               ; masked_select_aot.py:18:36
	s_and_saveexec_b64 s[10:11], s[20:21]
	s_cbranch_execz .LBB0_20
; %bb.19:
	.loc	1 0 36                          ; masked_select_aot.py:0:36
	v_cndmask_b32_e64 v8, v8, v20, s[16:17]
	v_cndmask_b32_e64 v8, v8, v9, s[18:19]
	;; [unrolled: 1-line block ×3, first 2 shown]
	v_add3_u32 v26, v16, v8, -1
	v_ashrrev_i32_e32 v27, 31, v26
	v_lshl_add_u64 v[26:27], v[26:27], 2, s[6:7]
	.loc	1 18 36                         ; masked_select_aot.py:18:36
	global_store_dword v[26:27], v24, off
.LBB0_20:
	.loc	1 0 36                          ; masked_select_aot.py:0:36
	s_or_b64 exec, exec, s[10:11]
.Ltmp22:
	.loc	2 263 15 is_stmt 1              ; standard.py:263:15 @[ standard.py:343:60 @[ masked_select_aot.py:16:28 ] ]
	v_add_u32_e32 v8, v9, v11
	s_waitcnt lgkmcnt(2)
	v_add_u32_e32 v9, v8, v4
	v_add_u32_e32 v5, v9, v5
	;; [unrolled: 1-line block ×3, first 2 shown]
.Ltmp23:
	.loc	1 18 62                         ; masked_select_aot.py:18:62
	s_and_b64 s[10:11], s[2:3], s[14:15]
	.loc	1 18 36 is_stmt 0               ; masked_select_aot.py:18:36
	s_and_saveexec_b64 s[2:3], s[10:11]
	s_cbranch_execz .LBB0_22
; %bb.21:
.Ltmp24:
	.loc	2 343 60 is_stmt 1              ; standard.py:343:60 @[ masked_select_aot.py:16:28 ]
	v_cndmask_b32_e64 v6, v9, v8, s[4:5]
	v_cndmask_b32_e64 v5, v6, v5, s[16:17]
	;; [unrolled: 1-line block ×3, first 2 shown]
.Ltmp25:
	.loc	1 16 49                         ; masked_select_aot.py:16:49
	v_add3_u32 v8, v19, v5, -1
	.loc	1 18 23                         ; masked_select_aot.py:18:23
	v_ashrrev_i32_e32 v9, 31, v8
	v_lshl_add_u64 v[8:9], v[8:9], 2, s[6:7]
	.loc	1 18 36 is_stmt 0               ; masked_select_aot.py:18:36
	global_store_dword v[8:9], v22, off
.LBB0_22:
	.loc	1 0 36                          ; masked_select_aot.py:0:36
	s_or_b64 exec, exec, s[2:3]
.Ltmp26:
	.loc	2 263 15 is_stmt 1              ; standard.py:263:15 @[ standard.py:343:60 @[ masked_select_aot.py:16:28 ] ]
	v_add_u32_e32 v4, v4, v7
	s_waitcnt lgkmcnt(1)
	v_add_u32_e32 v5, v4, v0
	v_add_u32_e32 v1, v5, v1
	;; [unrolled: 1-line block ×3, first 2 shown]
.Ltmp27:
	.loc	1 18 62                         ; masked_select_aot.py:18:62
	s_and_b64 s[2:3], s[0:1], s[8:9]
	.loc	1 18 36 is_stmt 0               ; masked_select_aot.py:18:36
	s_and_saveexec_b64 s[0:1], s[2:3]
	s_cbranch_execnz .LBB0_25
; %bb.23:
	.loc	1 0 36                          ; masked_select_aot.py:0:36
	s_or_b64 exec, exec, s[0:1]
	.loc	1 18 62                         ; masked_select_aot.py:18:62
	s_and_b64 s[0:1], vcc, s[12:13]
	.loc	1 18 36                         ; masked_select_aot.py:18:36
	s_and_saveexec_b64 s[2:3], s[0:1]
	s_cbranch_execnz .LBB0_26
.LBB0_24:
	.loc	1 18 4                          ; masked_select_aot.py:18:4
	s_endpgm
.LBB0_25:
.Ltmp28:
	.loc	2 343 60 is_stmt 1              ; standard.py:343:60 @[ masked_select_aot.py:16:28 ]
	v_cndmask_b32_e64 v2, v5, v4, s[4:5]
	v_cndmask_b32_e64 v1, v2, v1, s[16:17]
	v_cndmask_b32_e64 v1, v1, v0, s[18:19]
.Ltmp29:
	.loc	1 16 49                         ; masked_select_aot.py:16:49
	v_add3_u32 v4, v18, v1, -1
	.loc	1 18 23                         ; masked_select_aot.py:18:23
	v_ashrrev_i32_e32 v5, 31, v4
	v_lshl_add_u64 v[4:5], v[4:5], 2, s[6:7]
	.loc	1 18 36 is_stmt 0               ; masked_select_aot.py:18:36
	global_store_dword v[4:5], v23, off
	s_or_b64 exec, exec, s[0:1]
	.loc	1 18 62                         ; masked_select_aot.py:18:62
	s_and_b64 s[0:1], vcc, s[12:13]
	.loc	1 18 36                         ; masked_select_aot.py:18:36
	s_and_saveexec_b64 s[2:3], s[0:1]
	s_cbranch_execz .LBB0_24
.LBB0_26:
.Ltmp30:
	.loc	2 263 15 is_stmt 1              ; standard.py:263:15 @[ standard.py:343:60 @[ masked_select_aot.py:16:28 ] ]
	v_add_u32_e32 v0, v0, v3
	s_waitcnt lgkmcnt(0)
	v_add_u32_e32 v1, v0, v12
.Ltmp31:
	.loc	2 343 60                        ; standard.py:343:60 @[ masked_select_aot.py:16:28 ]
	v_cndmask_b32_e64 v0, v1, v0, s[4:5]
.Ltmp32:
	.loc	2 263 15                        ; standard.py:263:15 @[ standard.py:343:60 @[ masked_select_aot.py:16:28 ] ]
	v_add_u32_e32 v1, v1, v13
.Ltmp33:
	.loc	2 343 60                        ; standard.py:343:60 @[ masked_select_aot.py:16:28 ]
	v_cndmask_b32_e64 v0, v0, v1, s[16:17]
.Ltmp34:
	.loc	2 263 15                        ; standard.py:263:15 @[ standard.py:343:60 @[ masked_select_aot.py:16:28 ] ]
	v_add_u32_e32 v1, v1, v14
.Ltmp35:
	.loc	2 343 60                        ; standard.py:343:60 @[ masked_select_aot.py:16:28 ]
	v_cndmask_b32_e64 v0, v0, v1, s[18:19]
.Ltmp36:
	.loc	1 16 49                         ; masked_select_aot.py:16:49
	v_add3_u32 v0, v17, v0, -1
	.loc	1 18 23                         ; masked_select_aot.py:18:23
	v_ashrrev_i32_e32 v1, 31, v0
	v_lshl_add_u64 v[0:1], v[0:1], 2, s[6:7]
	.loc	1 18 36 is_stmt 0               ; masked_select_aot.py:18:36
	global_store_dword v[0:1], v21, off
	.loc	1 18 4                          ; masked_select_aot.py:18:4
	s_endpgm
.Ltmp37:
	.section	.rodata,"a",@progbits
	.p2align	6, 0x0
	.amdhsa_kernel masked_select_single_pass_kernel
		.amdhsa_group_segment_fixed_size 0
		.amdhsa_private_segment_fixed_size 0
		.amdhsa_kernarg_size 48
		.amdhsa_user_sgpr_count 14
		.amdhsa_user_sgpr_dispatch_ptr 0
		.amdhsa_user_sgpr_queue_ptr 0
		.amdhsa_user_sgpr_kernarg_segment_ptr 1
		.amdhsa_user_sgpr_dispatch_id 0
		.amdhsa_user_sgpr_kernarg_preload_length 12
		.amdhsa_user_sgpr_kernarg_preload_offset 0
		.amdhsa_user_sgpr_private_segment_size 0
		.amdhsa_uses_dynamic_stack 0
		.amdhsa_enable_private_segment 0
		.amdhsa_system_sgpr_workgroup_id_x 1
		.amdhsa_system_sgpr_workgroup_id_y 0
		.amdhsa_system_sgpr_workgroup_id_z 0
		.amdhsa_system_sgpr_workgroup_info 0
		.amdhsa_system_vgpr_workitem_id 0
		.amdhsa_next_free_vgpr 28
		.amdhsa_next_free_sgpr 30
		.amdhsa_accum_offset 28
		.amdhsa_reserve_vcc 1
		.amdhsa_reserve_xnack_mask 1
		.amdhsa_float_round_mode_32 0
		.amdhsa_float_round_mode_16_64 0
		.amdhsa_float_denorm_mode_32 3
		.amdhsa_float_denorm_mode_16_64 3
		.amdhsa_dx10_clamp 1
		.amdhsa_ieee_mode 1
		.amdhsa_fp16_overflow 0
		.amdhsa_tg_split 0
		.amdhsa_exception_fp_ieee_invalid_op 0
		.amdhsa_exception_fp_denorm_src 0
		.amdhsa_exception_fp_ieee_div_zero 0
		.amdhsa_exception_fp_ieee_overflow 0
		.amdhsa_exception_fp_ieee_underflow 0
		.amdhsa_exception_fp_ieee_inexact 0
		.amdhsa_exception_int_div_zero 0
	.end_amdhsa_kernel
	.text
.Lfunc_end0:
	.size	masked_select_single_pass_kernel, .Lfunc_end0-masked_select_single_pass_kernel
	.cfi_endproc
                                        ; -- End function
	.set masked_select_single_pass_kernel.num_vgpr, 28
	.set masked_select_single_pass_kernel.num_agpr, 0
	.set masked_select_single_pass_kernel.numbered_sgpr, 30
	.set masked_select_single_pass_kernel.num_named_barrier, 0
	.set masked_select_single_pass_kernel.private_seg_size, 0
	.set masked_select_single_pass_kernel.uses_vcc, 1
	.set masked_select_single_pass_kernel.uses_flat_scratch, 0
	.set masked_select_single_pass_kernel.has_dyn_sized_stack, 0
	.set masked_select_single_pass_kernel.has_recursion, 0
	.set masked_select_single_pass_kernel.has_indirect_call, 0
	.section	.AMDGPU.csdata,"",@progbits
; Kernel info:
; codeLenInByte = 1880
; TotalNumSgprs: 36
; NumVgprs: 28
; NumAgprs: 0
; TotalNumVgprs: 28
; ScratchSize: 0
; MemoryBound: 0
; FloatMode: 240
; IeeeMode: 1
; LDSByteSize: 0 bytes/workgroup (compile time only)
; SGPRBlocks: 4
; VGPRBlocks: 3
; NumSGPRsForWavesPerEU: 36
; NumVGPRsForWavesPerEU: 28
; AccumOffset: 28
; Occupancy: 8
; WaveLimiterHint : 0
; COMPUTE_PGM_RSRC2:SCRATCH_EN: 0
; COMPUTE_PGM_RSRC2:USER_SGPR: 14
; COMPUTE_PGM_RSRC2:TRAP_HANDLER: 0
; COMPUTE_PGM_RSRC2:TGID_X_EN: 1
; COMPUTE_PGM_RSRC2:TGID_Y_EN: 0
; COMPUTE_PGM_RSRC2:TGID_Z_EN: 0
; COMPUTE_PGM_RSRC2:TIDIG_COMP_CNT: 0
; COMPUTE_PGM_RSRC3_GFX90A:ACCUM_OFFSET: 6
; COMPUTE_PGM_RSRC3_GFX90A:TG_SPLIT: 0
	.text
	.p2alignl 6, 3212836864
	.fill 256, 4, 3212836864
	.section	.AMDGPU.gpr_maximums,"",@progbits
	.set amdgpu.max_num_vgpr, 0
	.set amdgpu.max_num_agpr, 0
	.set amdgpu.max_num_sgpr, 0
	.set amdgpu.max_num_named_barrier, 0
	.text
	.section	.debug_abbrev,"",@progbits
	.byte	1                               ; Abbreviation Code
	.byte	17                              ; DW_TAG_compile_unit
	.byte	1                               ; DW_CHILDREN_yes
	.byte	37                              ; DW_AT_producer
	.byte	14                              ; DW_FORM_strp
	.byte	19                              ; DW_AT_language
	.byte	5                               ; DW_FORM_data2
	.byte	3                               ; DW_AT_name
	.byte	14                              ; DW_FORM_strp
	.byte	16                              ; DW_AT_stmt_list
	.byte	23                              ; DW_FORM_sec_offset
	.byte	27                              ; DW_AT_comp_dir
	.byte	14                              ; DW_FORM_strp
	.byte	17                              ; DW_AT_low_pc
	.byte	1                               ; DW_FORM_addr
	.byte	18                              ; DW_AT_high_pc
	.byte	6                               ; DW_FORM_data4
	.byte	0                               ; EOM(1)
	.byte	0                               ; EOM(2)
	.byte	2                               ; Abbreviation Code
	.byte	46                              ; DW_TAG_subprogram
	.byte	0                               ; DW_CHILDREN_no
	.byte	3                               ; DW_AT_name
	.byte	14                              ; DW_FORM_strp
	.byte	32                              ; DW_AT_inline
	.byte	11                              ; DW_FORM_data1
	.byte	0                               ; EOM(1)
	.byte	0                               ; EOM(2)
	.byte	3                               ; Abbreviation Code
	.byte	46                              ; DW_TAG_subprogram
	.byte	1                               ; DW_CHILDREN_yes
	.byte	17                              ; DW_AT_low_pc
	.byte	1                               ; DW_FORM_addr
	.byte	18                              ; DW_AT_high_pc
	.byte	6                               ; DW_FORM_data4
	.byte	49                              ; DW_AT_abstract_origin
	.byte	19                              ; DW_FORM_ref4
	.byte	0                               ; EOM(1)
	.byte	0                               ; EOM(2)
	.byte	4                               ; Abbreviation Code
	.byte	29                              ; DW_TAG_inlined_subroutine
	.byte	1                               ; DW_CHILDREN_yes
	.byte	49                              ; DW_AT_abstract_origin
	.byte	19                              ; DW_FORM_ref4
	.byte	85                              ; DW_AT_ranges
	.byte	23                              ; DW_FORM_sec_offset
	.byte	88                              ; DW_AT_call_file
	.byte	11                              ; DW_FORM_data1
	.byte	89                              ; DW_AT_call_line
	.byte	11                              ; DW_FORM_data1
	.byte	87                              ; DW_AT_call_column
	.byte	11                              ; DW_FORM_data1
	.byte	0                               ; EOM(1)
	.byte	0                               ; EOM(2)
	.byte	5                               ; Abbreviation Code
	.byte	29                              ; DW_TAG_inlined_subroutine
	.byte	0                               ; DW_CHILDREN_no
	.byte	49                              ; DW_AT_abstract_origin
	.byte	19                              ; DW_FORM_ref4
	.byte	85                              ; DW_AT_ranges
	.byte	23                              ; DW_FORM_sec_offset
	.byte	88                              ; DW_AT_call_file
	.byte	11                              ; DW_FORM_data1
	.byte	89                              ; DW_AT_call_line
	.byte	5                               ; DW_FORM_data2
	.byte	87                              ; DW_AT_call_column
	.byte	11                              ; DW_FORM_data1
	.byte	0                               ; EOM(1)
	.byte	0                               ; EOM(2)
	;; [unrolled: 1-line block ×3, first 2 shown]
	.section	.debug_info,"",@progbits
.Lcu_begin0:
	.long	.Ldebug_info_end0-.Ldebug_info_start0 ; Length of Unit
.Ldebug_info_start0:
	.short	4                               ; DWARF version number
	.long	.debug_abbrev                   ; Offset Into Abbrev. Section
	.byte	8                               ; Address Size (in bytes)
	.byte	1                               ; Abbrev [1] 0xb:0x52 DW_TAG_compile_unit
	.long	.Linfo_string0                  ; DW_AT_producer
	.short	2                               ; DW_AT_language
	.long	.Linfo_string1                  ; DW_AT_name
	.long	.Lline_table_start0             ; DW_AT_stmt_list
	.long	.Linfo_string2                  ; DW_AT_comp_dir
	.quad	.Lfunc_begin0                   ; DW_AT_low_pc
	.long	.Lfunc_end0-.Lfunc_begin0       ; DW_AT_high_pc
	.byte	2                               ; Abbrev [2] 0x2a:0x6 DW_TAG_subprogram
	.long	.Linfo_string3                  ; DW_AT_name
	.byte	1                               ; DW_AT_inline
	.byte	3                               ; Abbrev [3] 0x30:0x2c DW_TAG_subprogram
	.quad	.Lfunc_begin0                   ; DW_AT_low_pc
	.long	.Lfunc_end0-.Lfunc_begin0       ; DW_AT_high_pc
	.long	42                              ; DW_AT_abstract_origin
	.byte	4                               ; Abbrev [4] 0x41:0x1a DW_TAG_inlined_subroutine
	.long	42                              ; DW_AT_abstract_origin
	.long	.Ldebug_ranges0                 ; DW_AT_ranges
	.byte	1                               ; DW_AT_call_file
	.byte	16                              ; DW_AT_call_line
	.byte	28                              ; DW_AT_call_column
	.byte	5                               ; Abbrev [5] 0x4d:0xd DW_TAG_inlined_subroutine
	.long	42                              ; DW_AT_abstract_origin
	.long	.Ldebug_ranges1                 ; DW_AT_ranges
	.byte	2                               ; DW_AT_call_file
	.short	343                             ; DW_AT_call_line
	.byte	60                              ; DW_AT_call_column
	.byte	0                               ; End Of Children Mark
	.byte	0                               ; End Of Children Mark
	.byte	0                               ; End Of Children Mark
.Ldebug_info_end0:
	.section	.debug_ranges,"",@progbits
.Ldebug_ranges0:
	.quad	.Ltmp2-.Lfunc_begin0
	.quad	.Ltmp3-.Lfunc_begin0
	;; [unrolled: 1-line block ×26, first 2 shown]
	.quad	0
	.quad	0
.Ldebug_ranges1:
	.quad	.Ltmp17-.Lfunc_begin0
	.quad	.Ltmp18-.Lfunc_begin0
	.quad	.Ltmp19-.Lfunc_begin0
	.quad	.Ltmp20-.Lfunc_begin0
	.quad	.Ltmp22-.Lfunc_begin0
	.quad	.Ltmp23-.Lfunc_begin0
	.quad	.Ltmp26-.Lfunc_begin0
	.quad	.Ltmp27-.Lfunc_begin0
	.quad	.Ltmp30-.Lfunc_begin0
	.quad	.Ltmp31-.Lfunc_begin0
	.quad	.Ltmp32-.Lfunc_begin0
	.quad	.Ltmp33-.Lfunc_begin0
	.quad	.Ltmp34-.Lfunc_begin0
	.quad	.Ltmp35-.Lfunc_begin0
	.quad	0
	.quad	0
	.section	.debug_str,"MS",@progbits,1
.Linfo_string0:
	.asciz	"triton"                        ; string offset=0
.Linfo_string1:
	.asciz	"masked_select_aot.py"          ; string offset=7
.Linfo_string2:
	.asciz	"/root/src/amdgpu-assembly/repos/FlagOpen__FlagGems/triton_aot_kernels" ; string offset=28
.Linfo_string3:
	.asciz	"masked_select_single_pass_kernel" ; string offset=98
	.section	".note.GNU-stack","",@progbits
	.amdgpu_metadata
---
amdhsa.kernels:
  - .agpr_count:     0
    .args:
      - .address_space:  global
        .offset:         0
        .size:           8
        .value_kind:     global_buffer
      - .address_space:  global
        .offset:         8
        .size:           8
        .value_kind:     global_buffer
      - .address_space:  global
        .offset:         16
        .size:           8
        .value_kind:     global_buffer
      - .offset:         24
        .size:           4
        .value_kind:     by_value
      - .address_space:  global
        .offset:         32
        .size:           8
        .value_kind:     global_buffer
      - .address_space:  global
        .offset:         40
        .size:           8
        .value_kind:     global_buffer
    .group_segment_fixed_size: 0
    .kernarg_segment_align: 8
    .kernarg_segment_size: 48
    .max_flat_workgroup_size: 256
    .name:           masked_select_single_pass_kernel
    .private_segment_fixed_size: 0
    .sgpr_count:     36
    .sgpr_spill_count: 0
    .symbol:         masked_select_single_pass_kernel.kd
    .uniform_work_group_size: 1
    .uses_dynamic_stack: false
    .vgpr_count:     28
    .vgpr_spill_count: 0
    .wavefront_size: 64
amdhsa.target:   amdgcn-amd-amdhsa--gfx950
amdhsa.version:
  - 1
  - 2
...

	.end_amdgpu_metadata
	.section	.debug_line,"",@progbits
.Lline_table_start0:
